;; amdgpu-corpus repo=linkedin/Liger-Kernel kind=triton arch=gfx950 opt=O3 lang=triton
	.amdgcn_target "amdgcn-amd-amdhsa--gfx950"
	.amdhsa_code_object_version 5
	.text
	.globl	_rms_norm_forward_kernel        ; -- Begin function _rms_norm_forward_kernel
	.p2align	8
	.type	_rms_norm_forward_kernel,@function
_rms_norm_forward_kernel:               ; @_rms_norm_forward_kernel
.Lfunc_begin0:
	.cfi_sections .debug_frame
	.cfi_startproc
; %bb.9:
	.file	1 "/root/src/amdgpu-assembly/repos/linkedin__Liger-Kernel/triton_aot_kernels" "rms_norm_aot.py"
	.loc	1 16 0 prologue_end             ; rms_norm_aot.py:16:0
	s_load_dwordx2 s[2:3], s[0:1], 0x0
	s_load_dwordx8 s[4:11], s[0:1], 0x8
	s_load_dwordx4 s[12:15], s[0:1], 0x28
	s_waitcnt lgkmcnt(0)
	s_branch .LBB0_0
	.loc	1 0 0 is_stmt 0                 ; :0:0
.Ltmp0:
	.p2align	8
; %bb.10:
.LBB0_0:
	s_load_dword s9, s[0:1], 0x3c
.Ltmp1:
	.loc	1 74 24 is_stmt 1               ; rms_norm_aot.py:74:24
	v_readfirstlane_b32 s5, v0
	s_mov_b64 s[20:21], s[10:11]
	.loc	1 42 31                         ; rms_norm_aot.py:42:31
	v_and_b32_e32 v5, 63, v0
	s_and_b32 s10, s5, 0xc0
	v_or_b32_e32 v1, s10, v5
	.loc	1 46 31                         ; rms_norm_aot.py:46:31
	s_mul_hi_i32 s11, s8, s16
	s_mul_i32 s10, s8, s16
	.loc	1 42 31                         ; rms_norm_aot.py:42:31
	v_or_b32_e32 v2, 0x100, v1
	.loc	1 46 21                         ; rms_norm_aot.py:46:21
	s_lshl_b64 s[10:11], s[10:11], 2
	.loc	1 49 20                         ; rms_norm_aot.py:49:20
	v_lshlrev_b32_e32 v6, 2, v1
	v_bfrev_b32_e32 v7, 1
	.loc	1 43 25                         ; rms_norm_aot.py:43:25
	s_waitcnt lgkmcnt(0)
	v_cmp_gt_i32_e32 vcc, s9, v1
	.loc	1 42 31                         ; rms_norm_aot.py:42:31
	v_or_b32_e32 v3, 0x200, v1
	v_or_b32_e32 v4, 0x300, v1
	.loc	1 46 21                         ; rms_norm_aot.py:46:21
	s_add_u32 s24, s6, s10
	.loc	1 49 20                         ; rms_norm_aot.py:49:20
	v_cndmask_b32_e32 v1, v7, v6, vcc
	v_lshlrev_b32_e32 v6, 2, v2
	.loc	1 43 25                         ; rms_norm_aot.py:43:25
	v_cmp_gt_i32_e32 vcc, s9, v2
	.loc	1 46 21                         ; rms_norm_aot.py:46:21
	s_addc_u32 s6, s7, s11
	.loc	1 49 20                         ; rms_norm_aot.py:49:20
	s_and_b32 s25, s6, 0xffff
	v_cndmask_b32_e32 v2, v7, v6, vcc
	v_lshlrev_b32_e32 v6, 2, v3
	.loc	1 43 25                         ; rms_norm_aot.py:43:25
	v_cmp_gt_i32_e32 vcc, s9, v3
	s_mov_b32 s27, 0x27000
	s_mov_b32 s26, 0x7ffffffe
	.loc	1 49 20                         ; rms_norm_aot.py:49:20
	v_cndmask_b32_e32 v3, v7, v6, vcc
	v_lshlrev_b32_e32 v6, 2, v4
	.loc	1 43 25                         ; rms_norm_aot.py:43:25
	v_cmp_gt_i32_e32 vcc, s9, v4
	.loc	1 52 24                         ; rms_norm_aot.py:52:24
	s_and_b32 s21, s21, 0xffff
	s_mov_b32 s22, s26
	.loc	1 49 20                         ; rms_norm_aot.py:49:20
	v_cndmask_b32_e32 v4, v7, v6, vcc
	buffer_load_dword v6, v1, s[24:27], 0 offen
	buffer_load_dword v7, v2, s[24:27], 0 offen
	;; [unrolled: 1-line block ×4, first 2 shown]
	.loc	1 52 24                         ; rms_norm_aot.py:52:24
	s_mov_b32 s23, s27
	buffer_load_dword v10, v1, s[20:23], 0 offen
	buffer_load_dword v11, v2, s[20:23], 0 offen
	;; [unrolled: 1-line block ×4, first 2 shown]
.Ltmp2:
	.file	2 "/root/.local/lib/python3.13/site-packages/triton/language" "standard.py"
	.loc	2 293 36                        ; standard.py:293:36 @[ rms_norm_aot.py:68:25 ]
	v_cmp_eq_u32_e32 vcc, 0, v5
.Ltmp3:
	.loc	2 263 15                        ; standard.py:263:15 @[ standard.py:293:36 @[ rms_norm_aot.py:68:25 ] ]
	s_waitcnt vmcnt(7)
	v_mul_f32_e32 v14, v6, v6
	s_waitcnt vmcnt(6)
	v_fmac_f32_e32 v14, v7, v7
	s_waitcnt vmcnt(5)
	v_fmac_f32_e32 v14, v8, v8
	;; [unrolled: 2-line block ×3, first 2 shown]
	s_nop 1
	v_add_f32_dpp v14, v14, v14 row_shr:8 row_mask:0xf bank_mask:0xf bound_ctrl:1
	s_nop 1
	v_add_f32_dpp v14, v14, v14 row_shr:4 row_mask:0xf bank_mask:0xf bound_ctrl:1
	;; [unrolled: 2-line block ×4, first 2 shown]
.Ltmp4:
	.loc	2 293 36                        ; standard.py:293:36 @[ rms_norm_aot.py:68:25 ]
	v_mov_b32_e32 v15, v14
	s_nop 1
	v_mov_b32_dpp v15, v15 row_bcast:15 row_mask:0xa bank_mask:0xf bound_ctrl:1
.Ltmp5:
	.loc	2 263 15                        ; standard.py:263:15 @[ standard.py:293:36 @[ rms_norm_aot.py:68:25 ] ]
	v_add_f32_e32 v14, v14, v15
	s_nop 1
	v_add_f32_dpp v14, v14, v14 row_bcast:31 row_mask:0xf bank_mask:0xf bound_ctrl:1
.Ltmp6:
	.loc	2 293 36                        ; standard.py:293:36 @[ rms_norm_aot.py:68:25 ]
	s_nop 0
	v_readlane_b32 s8, v14, 63
	s_and_saveexec_b64 s[6:7], vcc
	s_cbranch_execz .LBB0_2
; %bb.1:
	.loc	2 0 36 is_stmt 0                ; standard.py:0:36
	s_lshr_b32 s10, s5, 4
	s_and_b32 s10, s10, 12
	s_add_i32 s10, s10, 0
	.loc	2 293 36                        ; standard.py:293:36 @[ rms_norm_aot.py:68:25 ]
	v_mov_b32_e32 v14, s10
	v_mov_b32_e32 v15, s8
	ds_write_b32 v14, v15
.LBB0_2:
	.loc	2 0 36                          ; standard.py:0:36
	s_or_b64 exec, exec, s[6:7]
	.loc	2 293 36                        ; standard.py:293:36 @[ rms_norm_aot.py:68:25 ]
	v_cmp_gt_u32_e32 vcc, 4, v0
	v_lshl_add_u32 v14, v0, 2, 0
.Ltmp7:
	.loc	1 68 25 is_stmt 1               ; rms_norm_aot.py:68:25
	v_mov_b32_e32 v15, 0
.Ltmp8:
	.loc	2 293 36                        ; standard.py:293:36 @[ rms_norm_aot.py:68:25 ]
	s_waitcnt lgkmcnt(0)
	s_barrier
	s_and_saveexec_b64 s[6:7], vcc
; %bb.3:
	ds_read_b32 v15, v14
; %bb.4:
	.loc	2 0 36 is_stmt 0                ; standard.py:0:36
	s_or_b64 exec, exec, s[6:7]
	s_load_dword s10, s[0:1], 0x40
	.loc	2 293 36                        ; standard.py:293:36 @[ rms_norm_aot.py:68:25 ]
	s_waitcnt lgkmcnt(0)
	v_mov_b32_e32 v16, v15
	v_and_b32_e32 v0, 3, v0
	v_cmp_eq_u32_e64 s[6:7], 0, v0
	v_mov_b32_dpp v16, v16 quad_perm:[2,3,0,1] row_mask:0xf bank_mask:0xf
.Ltmp9:
	.loc	2 263 15 is_stmt 1              ; standard.py:263:15 @[ standard.py:293:36 @[ rms_norm_aot.py:68:25 ] ]
	v_add_f32_e32 v15, v15, v16
.Ltmp10:
	.loc	2 293 36                        ; standard.py:293:36 @[ rms_norm_aot.py:68:25 ]
	v_mov_b32_e32 v16, v15
	s_and_b64 s[12:13], vcc, s[6:7]
	s_nop 0
	v_mov_b32_dpp v16, v16 quad_perm:[1,0,3,2] row_mask:0xf bank_mask:0xf
	s_and_saveexec_b64 s[6:7], s[12:13]
; %bb.5:
	.loc	2 0 36 is_stmt 0                ; standard.py:0:36
	v_add_f32_e32 v0, v15, v16
	.loc	2 293 36                        ; standard.py:293:36 @[ rms_norm_aot.py:68:25 ]
	ds_write_b32 v14, v0
; %bb.6:
	.loc	2 0 36                          ; standard.py:0:36
	s_or_b64 exec, exec, s[6:7]
	.loc	2 293 36                        ; standard.py:293:36 @[ rms_norm_aot.py:68:25 ]
	v_mov_b32_e32 v0, 0
	s_waitcnt lgkmcnt(0)
	s_barrier
	ds_read_b32 v14, v0
.Ltmp11:
	.loc	1 68 50 is_stmt 1               ; rms_norm_aot.py:68:50
	v_cvt_f32_i32_e32 v15, s9
	s_load_dword s8, s[0:1], 0x44
	.loc	1 90 35                         ; rms_norm_aot.py:90:35
	s_lshr_b32 s5, s5, 6
	.loc	1 74 24                         ; rms_norm_aot.py:74:24
	v_or_b32_e32 v5, s5, v5
	.loc	1 68 50                         ; rms_norm_aot.py:68:50
	s_waitcnt lgkmcnt(0)
	v_div_scale_f32 v16, s[6:7], v15, v15, v14
	v_rcp_f32_e32 v17, v16
	v_div_scale_f32 v18, vcc, v14, v15, v14
	v_fma_f32 v19, -v16, v17, 1.0
	v_fmac_f32_e32 v17, v19, v17
	v_mul_f32_e32 v19, v18, v17
	v_fma_f32 v20, -v16, v19, v18
	v_fmac_f32_e32 v19, v20, v17
	v_fma_f32 v16, -v16, v19, v18
	v_div_fmas_f32 v16, v16, v17, v19
	v_div_fixup_f32 v14, v16, v15, v14
	.loc	1 69 31                         ; rms_norm_aot.py:69:31
	v_add_f32_e32 v14, s10, v14
	.loc	1 69 17 is_stmt 0               ; rms_norm_aot.py:69:17
	v_rsq_f32_e32 v14, v14
	.loc	1 74 24 is_stmt 1               ; rms_norm_aot.py:74:24
	v_cmp_eq_u32_e32 vcc, 0, v5
	s_and_saveexec_b64 s[6:7], vcc
	s_cbranch_execz .LBB0_8
; %bb.7:
	.loc	1 0 24 is_stmt 0                ; rms_norm_aot.py:0:24
	s_load_dword s0, s[0:1], 0x38
	.loc	1 47 37 is_stmt 1               ; rms_norm_aot.py:47:37
	s_waitcnt lgkmcnt(0)
	s_mul_hi_i32 s1, s0, s16
	s_mul_i32 s0, s0, s16
	.loc	1 47 27 is_stmt 0               ; rms_norm_aot.py:47:27
	s_lshl_b64 s[0:1], s[0:1], 2
	s_add_u32 s0, s14, s0
	s_addc_u32 s1, s15, s1
	.loc	1 74 24 is_stmt 1               ; rms_norm_aot.py:74:24
	global_store_dword v0, v14, s[0:1]
.LBB0_8:
	.loc	1 0 24 is_stmt 0                ; rms_norm_aot.py:0:24
	s_or_b64 exec, exec, s[6:7]
	.loc	1 45 31 is_stmt 1               ; rms_norm_aot.py:45:31
	s_mul_hi_i32 s1, s4, s16
	s_mul_i32 s0, s4, s16
	.loc	1 45 21 is_stmt 0               ; rms_norm_aot.py:45:21
	s_lshl_b64 s[0:1], s[0:1], 2
	s_add_u32 s0, s2, s0
	s_addc_u32 s1, s3, s1
	.loc	1 76 20 is_stmt 1               ; rms_norm_aot.py:76:20
	v_mul_f32_e32 v0, v6, v14
	v_mul_f32_e32 v6, v8, v14
	.loc	1 83 34                         ; rms_norm_aot.py:83:34
	s_waitcnt vmcnt(3)
	v_add_f32_e32 v8, s8, v10
	.loc	1 76 20                         ; rms_norm_aot.py:76:20
	v_mul_f32_e32 v5, v7, v14
	v_mul_f32_e32 v7, v9, v14
	.loc	1 83 34                         ; rms_norm_aot.py:83:34
	s_waitcnt vmcnt(2)
	v_add_f32_e32 v9, s8, v11
	s_waitcnt vmcnt(1)
	v_add_f32_e32 v10, s8, v12
	s_waitcnt vmcnt(0)
	v_add_f32_e32 v11, s8, v13
	.loc	1 83 25 is_stmt 0               ; rms_norm_aot.py:83:25
	v_mul_f32_e32 v0, v8, v0
	.loc	1 90 35 is_stmt 1               ; rms_norm_aot.py:90:35
	s_and_b32 s1, s1, 0xffff
	s_mov_b32 s3, 0x27000
	s_mov_b32 s2, 0x7ffffffe
	.loc	1 83 25                         ; rms_norm_aot.py:83:25
	v_mul_f32_e32 v5, v9, v5
	v_mul_f32_e32 v6, v10, v6
	;; [unrolled: 1-line block ×3, first 2 shown]
	.loc	1 90 35                         ; rms_norm_aot.py:90:35
	buffer_store_dword v0, v1, s[0:3], 0 offen
	buffer_store_dword v5, v2, s[0:3], 0 offen
	;; [unrolled: 1-line block ×4, first 2 shown]
	.loc	1 90 4 is_stmt 0                ; rms_norm_aot.py:90:4
	s_endpgm
.Ltmp12:
	.section	.rodata,"a",@progbits
	.p2align	6, 0x0
	.amdhsa_kernel _rms_norm_forward_kernel
		.amdhsa_group_segment_fixed_size 0
		.amdhsa_private_segment_fixed_size 0
		.amdhsa_kernarg_size 88
		.amdhsa_user_sgpr_count 16
		.amdhsa_user_sgpr_dispatch_ptr 0
		.amdhsa_user_sgpr_queue_ptr 0
		.amdhsa_user_sgpr_kernarg_segment_ptr 1
		.amdhsa_user_sgpr_dispatch_id 0
		.amdhsa_user_sgpr_kernarg_preload_length 14
		.amdhsa_user_sgpr_kernarg_preload_offset 0
		.amdhsa_user_sgpr_private_segment_size 0
		.amdhsa_uses_dynamic_stack 0
		.amdhsa_enable_private_segment 0
		.amdhsa_system_sgpr_workgroup_id_x 1
		.amdhsa_system_sgpr_workgroup_id_y 0
		.amdhsa_system_sgpr_workgroup_id_z 0
		.amdhsa_system_sgpr_workgroup_info 0
		.amdhsa_system_vgpr_workitem_id 0
		.amdhsa_next_free_vgpr 21
		.amdhsa_next_free_sgpr 28
		.amdhsa_accum_offset 24
		.amdhsa_reserve_vcc 1
		.amdhsa_reserve_xnack_mask 1
		.amdhsa_float_round_mode_32 0
		.amdhsa_float_round_mode_16_64 0
		.amdhsa_float_denorm_mode_32 3
		.amdhsa_float_denorm_mode_16_64 3
		.amdhsa_dx10_clamp 1
		.amdhsa_ieee_mode 1
		.amdhsa_fp16_overflow 0
		.amdhsa_tg_split 0
		.amdhsa_exception_fp_ieee_invalid_op 0
		.amdhsa_exception_fp_denorm_src 0
		.amdhsa_exception_fp_ieee_div_zero 0
		.amdhsa_exception_fp_ieee_overflow 0
		.amdhsa_exception_fp_ieee_underflow 0
		.amdhsa_exception_fp_ieee_inexact 0
		.amdhsa_exception_int_div_zero 0
	.end_amdhsa_kernel
	.text
.Lfunc_end0:
	.size	_rms_norm_forward_kernel, .Lfunc_end0-_rms_norm_forward_kernel
	.cfi_endproc
                                        ; -- End function
	.set _rms_norm_forward_kernel.num_vgpr, 21
	.set _rms_norm_forward_kernel.num_agpr, 0
	.set _rms_norm_forward_kernel.numbered_sgpr, 28
	.set _rms_norm_forward_kernel.num_named_barrier, 0
	.set _rms_norm_forward_kernel.private_seg_size, 0
	.set _rms_norm_forward_kernel.uses_vcc, 1
	.set _rms_norm_forward_kernel.uses_flat_scratch, 0
	.set _rms_norm_forward_kernel.has_dyn_sized_stack, 0
	.set _rms_norm_forward_kernel.has_recursion, 0
	.set _rms_norm_forward_kernel.has_indirect_call, 0
	.section	.AMDGPU.csdata,"",@progbits
; Kernel info:
; codeLenInByte = 1104
; TotalNumSgprs: 34
; NumVgprs: 21
; NumAgprs: 0
; TotalNumVgprs: 21
; ScratchSize: 0
; MemoryBound: 0
; FloatMode: 240
; IeeeMode: 1
; LDSByteSize: 0 bytes/workgroup (compile time only)
; SGPRBlocks: 4
; VGPRBlocks: 2
; NumSGPRsForWavesPerEU: 34
; NumVGPRsForWavesPerEU: 21
; AccumOffset: 24
; Occupancy: 8
; WaveLimiterHint : 0
; COMPUTE_PGM_RSRC2:SCRATCH_EN: 0
; COMPUTE_PGM_RSRC2:USER_SGPR: 16
; COMPUTE_PGM_RSRC2:TRAP_HANDLER: 0
; COMPUTE_PGM_RSRC2:TGID_X_EN: 1
; COMPUTE_PGM_RSRC2:TGID_Y_EN: 0
; COMPUTE_PGM_RSRC2:TGID_Z_EN: 0
; COMPUTE_PGM_RSRC2:TIDIG_COMP_CNT: 0
; COMPUTE_PGM_RSRC3_GFX90A:ACCUM_OFFSET: 5
; COMPUTE_PGM_RSRC3_GFX90A:TG_SPLIT: 0
	.text
	.p2alignl 6, 3212836864
	.fill 256, 4, 3212836864
	.section	.AMDGPU.gpr_maximums,"",@progbits
	.set amdgpu.max_num_vgpr, 0
	.set amdgpu.max_num_agpr, 0
	.set amdgpu.max_num_sgpr, 0
	.set amdgpu.max_num_named_barrier, 0
	.text
	.section	.debug_abbrev,"",@progbits
	.byte	1                               ; Abbreviation Code
	.byte	17                              ; DW_TAG_compile_unit
	.byte	1                               ; DW_CHILDREN_yes
	.byte	37                              ; DW_AT_producer
	.byte	14                              ; DW_FORM_strp
	.byte	19                              ; DW_AT_language
	.byte	5                               ; DW_FORM_data2
	.byte	3                               ; DW_AT_name
	.byte	14                              ; DW_FORM_strp
	.byte	16                              ; DW_AT_stmt_list
	.byte	23                              ; DW_FORM_sec_offset
	.byte	27                              ; DW_AT_comp_dir
	.byte	14                              ; DW_FORM_strp
	.byte	17                              ; DW_AT_low_pc
	.byte	1                               ; DW_FORM_addr
	.byte	18                              ; DW_AT_high_pc
	.byte	6                               ; DW_FORM_data4
	.byte	0                               ; EOM(1)
	.byte	0                               ; EOM(2)
	.byte	2                               ; Abbreviation Code
	.byte	46                              ; DW_TAG_subprogram
	.byte	0                               ; DW_CHILDREN_no
	.byte	3                               ; DW_AT_name
	.byte	14                              ; DW_FORM_strp
	.byte	32                              ; DW_AT_inline
	.byte	11                              ; DW_FORM_data1
	.byte	0                               ; EOM(1)
	.byte	0                               ; EOM(2)
	.byte	3                               ; Abbreviation Code
	.byte	46                              ; DW_TAG_subprogram
	.byte	1                               ; DW_CHILDREN_yes
	.byte	17                              ; DW_AT_low_pc
	.byte	1                               ; DW_FORM_addr
	.byte	18                              ; DW_AT_high_pc
	.byte	6                               ; DW_FORM_data4
	.byte	49                              ; DW_AT_abstract_origin
	.byte	19                              ; DW_FORM_ref4
	.byte	0                               ; EOM(1)
	.byte	0                               ; EOM(2)
	.byte	4                               ; Abbreviation Code
	.byte	29                              ; DW_TAG_inlined_subroutine
	.byte	1                               ; DW_CHILDREN_yes
	.byte	49                              ; DW_AT_abstract_origin
	.byte	19                              ; DW_FORM_ref4
	.byte	85                              ; DW_AT_ranges
	.byte	23                              ; DW_FORM_sec_offset
	.byte	88                              ; DW_AT_call_file
	.byte	11                              ; DW_FORM_data1
	.byte	89                              ; DW_AT_call_line
	.byte	11                              ; DW_FORM_data1
	.byte	87                              ; DW_AT_call_column
	.byte	11                              ; DW_FORM_data1
	.byte	0                               ; EOM(1)
	.byte	0                               ; EOM(2)
	.byte	5                               ; Abbreviation Code
	.byte	29                              ; DW_TAG_inlined_subroutine
	.byte	0                               ; DW_CHILDREN_no
	.byte	49                              ; DW_AT_abstract_origin
	.byte	19                              ; DW_FORM_ref4
	.byte	85                              ; DW_AT_ranges
	.byte	23                              ; DW_FORM_sec_offset
	.byte	88                              ; DW_AT_call_file
	.byte	11                              ; DW_FORM_data1
	.byte	89                              ; DW_AT_call_line
	.byte	5                               ; DW_FORM_data2
	.byte	87                              ; DW_AT_call_column
	.byte	11                              ; DW_FORM_data1
	.byte	0                               ; EOM(1)
	.byte	0                               ; EOM(2)
	;; [unrolled: 1-line block ×3, first 2 shown]
	.section	.debug_info,"",@progbits
.Lcu_begin0:
	.long	.Ldebug_info_end0-.Ldebug_info_start0 ; Length of Unit
.Ldebug_info_start0:
	.short	4                               ; DWARF version number
	.long	.debug_abbrev                   ; Offset Into Abbrev. Section
	.byte	8                               ; Address Size (in bytes)
	.byte	1                               ; Abbrev [1] 0xb:0x52 DW_TAG_compile_unit
	.long	.Linfo_string0                  ; DW_AT_producer
	.short	2                               ; DW_AT_language
	.long	.Linfo_string1                  ; DW_AT_name
	.long	.Lline_table_start0             ; DW_AT_stmt_list
	.long	.Linfo_string2                  ; DW_AT_comp_dir
	.quad	.Lfunc_begin0                   ; DW_AT_low_pc
	.long	.Lfunc_end0-.Lfunc_begin0       ; DW_AT_high_pc
	.byte	2                               ; Abbrev [2] 0x2a:0x6 DW_TAG_subprogram
	.long	.Linfo_string3                  ; DW_AT_name
	.byte	1                               ; DW_AT_inline
	.byte	3                               ; Abbrev [3] 0x30:0x2c DW_TAG_subprogram
	.quad	.Lfunc_begin0                   ; DW_AT_low_pc
	.long	.Lfunc_end0-.Lfunc_begin0       ; DW_AT_high_pc
	.long	42                              ; DW_AT_abstract_origin
	.byte	4                               ; Abbrev [4] 0x41:0x1a DW_TAG_inlined_subroutine
	.long	42                              ; DW_AT_abstract_origin
	.long	.Ldebug_ranges0                 ; DW_AT_ranges
	.byte	1                               ; DW_AT_call_file
	.byte	68                              ; DW_AT_call_line
	.byte	25                              ; DW_AT_call_column
	.byte	5                               ; Abbrev [5] 0x4d:0xd DW_TAG_inlined_subroutine
	.long	42                              ; DW_AT_abstract_origin
	.long	.Ldebug_ranges1                 ; DW_AT_ranges
	.byte	2                               ; DW_AT_call_file
	.short	293                             ; DW_AT_call_line
	.byte	36                              ; DW_AT_call_column
	.byte	0                               ; End Of Children Mark
	.byte	0                               ; End Of Children Mark
	.byte	0                               ; End Of Children Mark
.Ldebug_info_end0:
	.section	.debug_ranges,"",@progbits
.Ldebug_ranges0:
	.quad	.Ltmp2-.Lfunc_begin0
	.quad	.Ltmp7-.Lfunc_begin0
	;; [unrolled: 1-line block ×4, first 2 shown]
	.quad	0
	.quad	0
.Ldebug_ranges1:
	.quad	.Ltmp3-.Lfunc_begin0
	.quad	.Ltmp4-.Lfunc_begin0
	;; [unrolled: 1-line block ×6, first 2 shown]
	.quad	0
	.quad	0
	.section	.debug_str,"MS",@progbits,1
.Linfo_string0:
	.asciz	"triton"                        ; string offset=0
.Linfo_string1:
	.asciz	"rms_norm_aot.py"               ; string offset=7
.Linfo_string2:
	.asciz	"/root/src/amdgpu-assembly/repos/linkedin__Liger-Kernel/triton_aot_kernels" ; string offset=23
.Linfo_string3:
	.asciz	"_rms_norm_forward_kernel"      ; string offset=97
	.section	".note.GNU-stack","",@progbits
	.amdgpu_metadata
---
amdhsa.kernels:
  - .agpr_count:     0
    .args:
      - .address_space:  global
        .offset:         0
        .size:           8
        .value_kind:     global_buffer
      - .offset:         8
        .size:           4
        .value_kind:     by_value
      - .address_space:  global
        .offset:         16
        .size:           8
        .value_kind:     global_buffer
      - .offset:         24
        .size:           4
        .value_kind:     by_value
      - .address_space:  global
        .offset:         32
        .size:           8
        .value_kind:     global_buffer
      - .offset:         40
        .size:           4
        .value_kind:     by_value
      - .address_space:  global
        .offset:         48
        .size:           8
        .value_kind:     global_buffer
      - .offset:         56
        .size:           4
        .value_kind:     by_value
      - .offset:         60
        .size:           4
        .value_kind:     by_value
      - .offset:         64
        .size:           4
        .value_kind:     by_value
      - .offset:         68
        .size:           4
        .value_kind:     by_value
      - .address_space:  global
        .offset:         72
        .size:           8
        .value_kind:     global_buffer
      - .address_space:  global
        .offset:         80
        .size:           8
        .value_kind:     global_buffer
    .group_segment_fixed_size: 0
    .kernarg_segment_align: 8
    .kernarg_segment_size: 88
    .max_flat_workgroup_size: 256
    .name:           _rms_norm_forward_kernel
    .private_segment_fixed_size: 0
    .sgpr_count:     34
    .sgpr_spill_count: 0
    .symbol:         _rms_norm_forward_kernel.kd
    .uniform_work_group_size: 1
    .uses_dynamic_stack: false
    .vgpr_count:     21
    .vgpr_spill_count: 0
    .wavefront_size: 64
amdhsa.target:   amdgcn-amd-amdhsa--gfx950
amdhsa.version:
  - 1
  - 2
...

	.end_amdgpu_metadata
	.section	.debug_line,"",@progbits
.Lline_table_start0:
